;; amdgpu-corpus repo=ROCm/rocFFT kind=compiled arch=gfx950 opt=O3
	.text
	.amdgcn_target "amdgcn-amd-amdhsa--gfx950"
	.amdhsa_code_object_version 6
	.protected	fft_rtc_fwd_len243_factors_3_9_9_wgs_108_tpt_27_halfLds_dim1_dp_op_CI_CI_unitstride_sbrr_C2R_dirReg ; -- Begin function fft_rtc_fwd_len243_factors_3_9_9_wgs_108_tpt_27_halfLds_dim1_dp_op_CI_CI_unitstride_sbrr_C2R_dirReg
	.globl	fft_rtc_fwd_len243_factors_3_9_9_wgs_108_tpt_27_halfLds_dim1_dp_op_CI_CI_unitstride_sbrr_C2R_dirReg
	.p2align	8
	.type	fft_rtc_fwd_len243_factors_3_9_9_wgs_108_tpt_27_halfLds_dim1_dp_op_CI_CI_unitstride_sbrr_C2R_dirReg,@function
fft_rtc_fwd_len243_factors_3_9_9_wgs_108_tpt_27_halfLds_dim1_dp_op_CI_CI_unitstride_sbrr_C2R_dirReg: ; @fft_rtc_fwd_len243_factors_3_9_9_wgs_108_tpt_27_halfLds_dim1_dp_op_CI_CI_unitstride_sbrr_C2R_dirReg
; %bb.0:
	s_load_dwordx4 s[4:7], s[0:1], 0x18
	v_mul_u32_u24_e32 v2, 0x97c, v0
	v_lshrrev_b32_e32 v1, 16, v2
	v_lshl_add_u32 v4, s2, 2, v1
	v_mov_b32_e32 v5, 0
	s_movk_i32 s8, 0x97c
	v_bfe_u32 v2, v2, 16, 2
	s_waitcnt lgkmcnt(0)
	v_cmp_gt_u64_e32 vcc, s[6:7], v[4:5]
	v_cmp_le_u64_e64 s[2:3], s[6:7], v[4:5]
                                        ; implicit-def: $vgpr15
                                        ; implicit-def: $vgpr8
	s_and_saveexec_b64 s[6:7], s[2:3]
	s_xor_b64 s[2:3], exec, s[6:7]
; %bb.1:
	v_mul_u32_u24_sdwa v1, v0, s8 dst_sel:DWORD dst_unused:UNUSED_PAD src0_sel:WORD_0 src1_sel:DWORD
	v_mov_b32_e32 v3, 27
	v_mul_lo_u16_sdwa v1, v1, v3 dst_sel:DWORD dst_unused:UNUSED_PAD src0_sel:WORD_1 src1_sel:DWORD
	v_sub_u16_e32 v15, v0, v1
	v_sub_u16_e32 v8, v0, v1
                                        ; implicit-def: $vgpr1
                                        ; implicit-def: $vgpr0
; %bb.2:
	s_or_saveexec_b64 s[10:11], s[2:3]
	s_load_dwordx2 s[8:9], s[0:1], 0x0
	s_load_dwordx2 s[6:7], s[4:5], 0x8
	v_mul_u32_u24_e32 v2, 0xf4, v2
	v_lshlrev_b32_e32 v14, 4, v2
                                        ; implicit-def: $vgpr6
	s_xor_b64 exec, exec, s[10:11]
	s_cbranch_execz .LBB0_6
; %bb.3:
	s_load_dwordx2 s[2:3], s[0:1], 0x10
	s_load_dwordx2 s[4:5], s[0:1], 0x50
	v_mul_lo_u16_e32 v1, 27, v1
	v_sub_u16_e32 v15, v0, v1
	v_mov_b32_e32 v45, 0
	s_waitcnt lgkmcnt(0)
	s_load_dwordx2 s[2:3], s[2:3], 0x8
	v_lshlrev_b32_e32 v44, 4, v15
	v_add3_u32 v3, 0, v14, v44
	s_waitcnt lgkmcnt(0)
	v_mad_u64_u32 v[0:1], s[12:13], s2, v4, 0
	v_mov_b32_e32 v6, v1
	v_mad_u64_u32 v[6:7], s[2:3], s3, v4, v[6:7]
	v_mov_b32_e32 v1, v6
	v_lshl_add_u64 v[0:1], v[0:1], 4, s[4:5]
	v_lshl_add_u64 v[46:47], v[0:1], 0, v[44:45]
	global_load_dwordx4 v[6:9], v[46:47], off
	global_load_dwordx4 v[10:13], v[46:47], off offset:432
	global_load_dwordx4 v[16:19], v[46:47], off offset:864
	;; [unrolled: 1-line block ×8, first 2 shown]
	v_cmp_eq_u16_e64 s[2:3], 26, v15
	s_waitcnt vmcnt(8)
	ds_write_b128 v3, v[6:9]
	s_waitcnt vmcnt(7)
	ds_write_b128 v3, v[10:13] offset:432
	s_waitcnt vmcnt(6)
	ds_write_b128 v3, v[16:19] offset:864
	;; [unrolled: 2-line block ×8, first 2 shown]
	v_mov_b32_e32 v8, v15
	s_and_saveexec_b64 s[4:5], s[2:3]
	s_cbranch_execz .LBB0_5
; %bb.4:
	global_load_dwordx4 v[6:9], v[0:1], off offset:3888
	v_mov_b32_e32 v15, 26
	s_waitcnt vmcnt(0)
	ds_write_b128 v3, v[6:9] offset:3472
	v_mov_b32_e32 v8, 26
.LBB0_5:
	s_or_b64 exec, exec, s[4:5]
	v_mov_b32_e32 v6, v8
.LBB0_6:
	s_or_b64 exec, exec, s[10:11]
	v_lshl_add_u32 v5, v2, 4, 0
	v_lshlrev_b32_e32 v16, 4, v8
	v_add_u32_e32 v7, v5, v16
	s_waitcnt lgkmcnt(0)
	s_barrier
	v_sub_u32_e32 v17, v5, v16
	ds_read_b64 v[10:11], v7
	ds_read_b64 v[12:13], v17 offset:3888
	v_cmp_ne_u16_e64 s[2:3], 0, v15
	s_waitcnt lgkmcnt(0)
	v_add_f64 v[0:1], v[10:11], v[12:13]
	v_add_f64 v[2:3], v[10:11], -v[12:13]
	s_and_saveexec_b64 s[4:5], s[2:3]
	s_xor_b64 s[2:3], exec, s[4:5]
	s_cbranch_execz .LBB0_8
; %bb.7:
	v_mov_b32_e32 v0, 4
	v_lshlrev_b32_sdwa v0, v0, v15 dst_sel:DWORD dst_unused:UNUSED_PAD src0_sel:DWORD src1_sel:WORD_0
	global_load_dwordx4 v[18:21], v0, s[8:9] offset:3840
	ds_read_b64 v[0:1], v17 offset:3896
	ds_read_b64 v[2:3], v7 offset:8
	v_add_f64 v[22:23], v[10:11], v[12:13]
	v_add_f64 v[24:25], v[10:11], -v[12:13]
	s_waitcnt lgkmcnt(0)
	v_add_f64 v[26:27], v[0:1], v[2:3]
	v_add_f64 v[0:1], v[2:3], -v[0:1]
	s_waitcnt vmcnt(0)
	v_fma_f64 v[10:11], -v[24:25], v[20:21], v[22:23]
	v_fma_f64 v[12:13], v[26:27], v[20:21], -v[0:1]
	v_fma_f64 v[28:29], v[24:25], v[20:21], v[22:23]
	v_fma_f64 v[2:3], v[26:27], v[20:21], v[0:1]
	v_fmac_f64_e32 v[10:11], v[26:27], v[18:19]
	v_fmac_f64_e32 v[12:13], v[24:25], v[18:19]
	v_fma_f64 v[0:1], -v[26:27], v[18:19], v[28:29]
	v_fmac_f64_e32 v[2:3], v[24:25], v[18:19]
	ds_write_b128 v17, v[10:13] offset:3888
.LBB0_8:
	s_andn2_saveexec_b64 s[2:3], s[2:3]
	s_or_b64 exec, exec, s[2:3]
	s_add_u32 s2, s8, 0xf00
	s_addc_u32 s3, s9, 0
	v_mov_b32_e32 v9, 0
	v_lshl_add_u64 v[10:11], v[8:9], 4, s[2:3]
	global_load_dwordx4 v[18:21], v[10:11], off offset:432
	global_load_dwordx4 v[22:25], v[10:11], off offset:864
	;; [unrolled: 1-line block ×3, first 2 shown]
	ds_write_b128 v7, v[0:3]
	ds_read_b128 v[0:3], v7 offset:432
	ds_read_b128 v[30:33], v17 offset:3456
	v_cmp_gt_u16_e64 s[2:3], 14, v15
	s_waitcnt lgkmcnt(0)
	v_add_f64 v[12:13], v[0:1], v[30:31]
	v_add_f64 v[34:35], v[32:33], v[2:3]
	v_add_f64 v[36:37], v[0:1], -v[30:31]
	v_add_f64 v[0:1], v[2:3], -v[32:33]
	s_waitcnt vmcnt(2)
	v_fma_f64 v[38:39], v[36:37], v[20:21], v[12:13]
	v_fma_f64 v[2:3], v[34:35], v[20:21], v[0:1]
	v_fma_f64 v[30:31], -v[36:37], v[20:21], v[12:13]
	v_fma_f64 v[32:33], v[34:35], v[20:21], -v[0:1]
	v_fma_f64 v[0:1], -v[34:35], v[18:19], v[38:39]
	v_fmac_f64_e32 v[2:3], v[36:37], v[18:19]
	v_fmac_f64_e32 v[30:31], v[34:35], v[18:19]
	;; [unrolled: 1-line block ×3, first 2 shown]
	ds_write_b128 v7, v[0:3] offset:432
	ds_write_b128 v17, v[30:33] offset:3456
	ds_read_b128 v[0:3], v7 offset:864
	ds_read_b128 v[18:21], v17 offset:3024
	s_waitcnt lgkmcnt(0)
	v_add_f64 v[12:13], v[0:1], v[18:19]
	v_add_f64 v[30:31], v[20:21], v[2:3]
	v_add_f64 v[32:33], v[0:1], -v[18:19]
	v_add_f64 v[0:1], v[2:3], -v[20:21]
	s_waitcnt vmcnt(1)
	v_fma_f64 v[34:35], v[32:33], v[24:25], v[12:13]
	v_fma_f64 v[2:3], v[30:31], v[24:25], v[0:1]
	v_fma_f64 v[18:19], -v[32:33], v[24:25], v[12:13]
	v_fma_f64 v[20:21], v[30:31], v[24:25], -v[0:1]
	v_fma_f64 v[0:1], -v[30:31], v[22:23], v[34:35]
	v_fmac_f64_e32 v[2:3], v[32:33], v[22:23]
	v_fmac_f64_e32 v[18:19], v[30:31], v[22:23]
	;; [unrolled: 1-line block ×3, first 2 shown]
	ds_write_b128 v7, v[0:3] offset:864
	ds_write_b128 v17, v[18:21] offset:3024
	ds_read_b128 v[0:3], v7 offset:1296
	ds_read_b128 v[18:21], v17 offset:2592
	s_waitcnt lgkmcnt(0)
	v_add_f64 v[12:13], v[0:1], v[18:19]
	v_add_f64 v[22:23], v[20:21], v[2:3]
	v_add_f64 v[24:25], v[0:1], -v[18:19]
	v_add_f64 v[0:1], v[2:3], -v[20:21]
	s_waitcnt vmcnt(0)
	v_fma_f64 v[30:31], v[24:25], v[28:29], v[12:13]
	v_fma_f64 v[2:3], v[22:23], v[28:29], v[0:1]
	v_fma_f64 v[18:19], -v[24:25], v[28:29], v[12:13]
	v_fma_f64 v[20:21], v[22:23], v[28:29], -v[0:1]
	v_fma_f64 v[0:1], -v[22:23], v[26:27], v[30:31]
	v_fmac_f64_e32 v[2:3], v[24:25], v[26:27]
	v_fmac_f64_e32 v[18:19], v[22:23], v[26:27]
	;; [unrolled: 1-line block ×3, first 2 shown]
	ds_write_b128 v7, v[0:3] offset:1296
	ds_write_b128 v17, v[18:21] offset:2592
	s_and_saveexec_b64 s[4:5], s[2:3]
	s_cbranch_execz .LBB0_10
; %bb.9:
	global_load_dwordx4 v[0:3], v[10:11], off offset:1728
	ds_read_b128 v[10:13], v7 offset:1728
	ds_read_b128 v[18:21], v17 offset:2160
	s_waitcnt lgkmcnt(0)
	v_add_f64 v[22:23], v[10:11], v[18:19]
	v_add_f64 v[24:25], v[20:21], v[12:13]
	v_add_f64 v[26:27], v[10:11], -v[18:19]
	v_add_f64 v[10:11], v[12:13], -v[20:21]
	s_waitcnt vmcnt(0)
	v_fma_f64 v[28:29], v[26:27], v[2:3], v[22:23]
	v_fma_f64 v[12:13], v[24:25], v[2:3], v[10:11]
	v_fma_f64 v[18:19], -v[26:27], v[2:3], v[22:23]
	v_fma_f64 v[20:21], v[24:25], v[2:3], -v[10:11]
	v_fma_f64 v[10:11], -v[24:25], v[0:1], v[28:29]
	v_fmac_f64_e32 v[12:13], v[26:27], v[0:1]
	v_fmac_f64_e32 v[18:19], v[24:25], v[0:1]
	;; [unrolled: 1-line block ×3, first 2 shown]
	ds_write_b128 v7, v[10:13] offset:1728
	ds_write_b128 v17, v[18:21] offset:2160
.LBB0_10:
	s_or_b64 exec, exec, s[4:5]
	s_waitcnt lgkmcnt(0)
	s_barrier
	s_barrier
	v_add3_u32 v10, 0, v16, v14
	ds_read_b128 v[0:3], v7
	ds_read_b128 v[16:19], v10 offset:432
	ds_read_b128 v[20:23], v10 offset:2592
	;; [unrolled: 1-line block ×8, first 2 shown]
	s_waitcnt lgkmcnt(4)
	v_add_f64 v[12:13], v[0:1], v[28:29]
	v_add_f64 v[48:49], v[12:13], v[20:21]
	v_add_f64 v[12:13], v[28:29], v[20:21]
	s_mov_b32 s2, 0xe8584caa
	v_fmac_f64_e32 v[0:1], -0.5, v[12:13]
	v_add_f64 v[12:13], v[30:31], -v[22:23]
	s_mov_b32 s3, 0x3febb67a
	s_mov_b32 s5, 0xbfebb67a
	s_mov_b32 s4, s2
	v_fma_f64 v[52:53], s[2:3], v[12:13], v[0:1]
	v_fmac_f64_e32 v[0:1], s[4:5], v[12:13]
	v_add_f64 v[12:13], v[2:3], v[30:31]
	v_add_f64 v[50:51], v[12:13], v[22:23]
	;; [unrolled: 1-line block ×3, first 2 shown]
	v_fmac_f64_e32 v[2:3], -0.5, v[12:13]
	v_add_f64 v[12:13], v[28:29], -v[20:21]
	v_fma_f64 v[54:55], s[4:5], v[12:13], v[2:3]
	v_fmac_f64_e32 v[2:3], s[2:3], v[12:13]
	s_waitcnt lgkmcnt(2)
	v_add_f64 v[12:13], v[16:17], v[36:37]
	v_add_f64 v[20:21], v[12:13], v[24:25]
	;; [unrolled: 1-line block ×3, first 2 shown]
	v_fmac_f64_e32 v[16:17], -0.5, v[12:13]
	v_add_f64 v[12:13], v[38:39], -v[26:27]
	v_fma_f64 v[28:29], s[2:3], v[12:13], v[16:17]
	v_fmac_f64_e32 v[16:17], s[4:5], v[12:13]
	v_add_f64 v[12:13], v[18:19], v[38:39]
	v_add_f64 v[22:23], v[12:13], v[26:27]
	;; [unrolled: 1-line block ×3, first 2 shown]
	v_fmac_f64_e32 v[18:19], -0.5, v[12:13]
	v_add_f64 v[12:13], v[36:37], -v[24:25]
	v_fma_f64 v[30:31], s[4:5], v[12:13], v[18:19]
	v_fmac_f64_e32 v[18:19], s[2:3], v[12:13]
	s_waitcnt lgkmcnt(1)
	v_add_f64 v[12:13], v[32:33], v[40:41]
	s_waitcnt lgkmcnt(0)
	v_add_f64 v[24:25], v[12:13], v[44:45]
	v_add_f64 v[12:13], v[40:41], v[44:45]
	v_fmac_f64_e32 v[32:33], -0.5, v[12:13]
	v_add_f64 v[12:13], v[42:43], -v[46:47]
	v_fma_f64 v[36:37], s[2:3], v[12:13], v[32:33]
	v_fmac_f64_e32 v[32:33], s[4:5], v[12:13]
	v_add_f64 v[12:13], v[34:35], v[42:43]
	v_add_f64 v[26:27], v[12:13], v[46:47]
	;; [unrolled: 1-line block ×3, first 2 shown]
	v_fmac_f64_e32 v[34:35], -0.5, v[12:13]
	v_add_f64 v[12:13], v[40:41], -v[44:45]
	v_lshl_add_u32 v11, v8, 5, v10
	v_fma_f64 v[38:39], s[4:5], v[12:13], v[34:35]
	v_fmac_f64_e32 v[34:35], s[2:3], v[12:13]
	s_barrier
	ds_write_b128 v11, v[48:51]
	ds_write_b128 v11, v[52:55] offset:16
	ds_write_b128 v11, v[0:3] offset:32
	ds_write_b128 v11, v[20:23] offset:1296
	ds_write_b128 v11, v[28:31] offset:1312
	ds_write_b128 v11, v[16:19] offset:1328
	ds_write_b128 v11, v[24:27] offset:2592
	v_add_u32_e32 v0, 0x800, v11
	s_movk_i32 s2, 0xab
	ds_write2_b64 v0, v[36:37], v[38:39] offset0:70 offset1:71
	ds_write2_b64 v0, v[32:33], v[34:35] offset0:72 offset1:73
	v_mul_lo_u16_sdwa v0, v15, s2 dst_sel:DWORD dst_unused:UNUSED_PAD src0_sel:BYTE_0 src1_sel:DWORD
	v_lshrrev_b16_e32 v11, 9, v0
	v_mul_lo_u16_e32 v0, 3, v11
	v_sub_u16_e32 v15, v15, v0
	v_mov_b32_e32 v0, 7
	v_lshlrev_b32_sdwa v0, v0, v15 dst_sel:DWORD dst_unused:UNUSED_PAD src0_sel:DWORD src1_sel:BYTE_0
	s_waitcnt lgkmcnt(0)
	s_barrier
	global_load_dwordx4 v[16:19], v0, s[8:9]
	global_load_dwordx4 v[20:23], v0, s[8:9] offset:16
	global_load_dwordx4 v[24:27], v0, s[8:9] offset:32
	;; [unrolled: 1-line block ×7, first 2 shown]
	ds_read_b128 v[48:51], v10 offset:432
	ds_read_b128 v[0:3], v7
	ds_read_b128 v[52:55], v10 offset:864
	ds_read_b128 v[56:59], v10 offset:1296
	s_mov_b32 s22, 0x523c161c
	s_mov_b32 s12, 0xa2cf5039
	;; [unrolled: 1-line block ×16, first 2 shown]
	s_movk_i32 s24, 0x1b0
	v_mad_u32_u24 v11, v11, s24, 0
	v_lshlrev_b32_e32 v8, 3, v8
	v_lshl_add_u64 v[8:9], v[8:9], 4, s[8:9]
	s_waitcnt vmcnt(7) lgkmcnt(3)
	v_mul_f64 v[12:13], v[50:51], v[18:19]
	v_fma_f64 v[12:13], v[48:49], v[16:17], -v[12:13]
	v_mul_f64 v[48:49], v[48:49], v[18:19]
	v_fmac_f64_e32 v[48:49], v[50:51], v[16:17]
	s_waitcnt vmcnt(6) lgkmcnt(1)
	v_mul_f64 v[16:17], v[54:55], v[22:23]
	v_fma_f64 v[50:51], v[52:53], v[20:21], -v[16:17]
	v_mul_f64 v[52:53], v[52:53], v[22:23]
	v_fmac_f64_e32 v[52:53], v[54:55], v[20:21]
	ds_read_b128 v[16:19], v10 offset:1728
	ds_read_b128 v[20:23], v10 offset:2160
	s_waitcnt vmcnt(5) lgkmcnt(2)
	v_mul_f64 v[54:55], v[58:59], v[26:27]
	v_fma_f64 v[54:55], v[56:57], v[24:25], -v[54:55]
	v_mul_f64 v[56:57], v[56:57], v[26:27]
	v_fmac_f64_e32 v[56:57], v[58:59], v[24:25]
	s_waitcnt vmcnt(4) lgkmcnt(1)
	v_mul_f64 v[24:25], v[18:19], v[30:31]
	v_mul_f64 v[60:61], v[16:17], v[30:31]
	v_fma_f64 v[58:59], v[16:17], v[28:29], -v[24:25]
	v_fmac_f64_e32 v[60:61], v[18:19], v[28:29]
	ds_read_b128 v[16:19], v10 offset:2592
	ds_read_b128 v[24:27], v10 offset:3024
	s_waitcnt vmcnt(3) lgkmcnt(2)
	v_mul_f64 v[28:29], v[22:23], v[34:35]
	v_mul_f64 v[64:65], v[20:21], v[34:35]
	v_fma_f64 v[62:63], v[20:21], v[32:33], -v[28:29]
	v_fmac_f64_e32 v[64:65], v[22:23], v[32:33]
	ds_read_b128 v[20:23], v10 offset:3456
	s_waitcnt vmcnt(2) lgkmcnt(2)
	v_mul_f64 v[28:29], v[18:19], v[38:39]
	v_fma_f64 v[28:29], v[16:17], v[36:37], -v[28:29]
	v_mul_f64 v[16:17], v[16:17], v[38:39]
	v_fmac_f64_e32 v[16:17], v[18:19], v[36:37]
	s_waitcnt vmcnt(1) lgkmcnt(1)
	v_mul_f64 v[18:19], v[26:27], v[42:43]
	v_fma_f64 v[18:19], v[24:25], v[40:41], -v[18:19]
	v_mul_f64 v[24:25], v[24:25], v[42:43]
	v_fmac_f64_e32 v[24:25], v[26:27], v[40:41]
	;; [unrolled: 5-line block ×3, first 2 shown]
	v_add_f64 v[44:45], v[12:13], v[26:27]
	v_add_f64 v[40:41], v[48:49], -v[20:21]
	v_add_f64 v[46:47], v[48:49], v[20:21]
	v_add_f64 v[66:67], v[50:51], v[18:19]
	;; [unrolled: 1-line block ×4, first 2 shown]
	v_add_f64 v[12:13], v[12:13], -v[26:27]
	v_add_f64 v[48:49], v[52:53], -v[24:25]
	v_add_f64 v[52:53], v[56:57], -v[16:17]
	v_mul_f64 v[22:23], v[40:41], s[22:23]
	v_fma_f64 v[16:17], s[12:13], v[44:45], v[0:1]
	v_add_f64 v[70:71], v[54:55], v[28:29]
	v_add_f64 v[42:43], v[50:51], -v[18:19]
	v_mul_f64 v[24:25], v[12:13], s[22:23]
	v_fmac_f64_e32 v[22:23], s[10:11], v[48:49]
	v_fma_f64 v[18:19], s[12:13], v[46:47], v[2:3]
	v_fmac_f64_e32 v[16:17], s[14:15], v[66:67]
	v_add_f64 v[50:51], v[54:55], -v[28:29]
	v_fmac_f64_e32 v[24:25], s[10:11], v[42:43]
	v_fmac_f64_e32 v[22:23], s[2:3], v[52:53]
	v_add_f64 v[56:57], v[60:61], -v[64:65]
	v_fmac_f64_e32 v[18:19], s[14:15], v[68:69]
	v_fmac_f64_e32 v[16:17], -0.5, v[70:71]
	v_add_f64 v[74:75], v[58:59], v[62:63]
	v_fmac_f64_e32 v[24:25], s[2:3], v[50:51]
	v_add_f64 v[54:55], v[58:59], -v[62:63]
	v_fmac_f64_e32 v[22:23], s[16:17], v[56:57]
	v_fmac_f64_e32 v[18:19], -0.5, v[72:73]
	v_add_f64 v[76:77], v[60:61], v[64:65]
	v_fmac_f64_e32 v[16:17], s[18:19], v[74:75]
	v_fmac_f64_e32 v[24:25], s[16:17], v[54:55]
	;; [unrolled: 1-line block ×3, first 2 shown]
	v_add_f64 v[16:17], v[22:23], v[16:17]
	v_add_f64 v[18:19], v[18:19], -v[24:25]
	v_mov_b64_e32 v[20:21], v[16:17]
	v_fmac_f64_e32 v[20:21], -2.0, v[22:23]
	v_mov_b64_e32 v[22:23], v[18:19]
	v_fmac_f64_e32 v[22:23], 2.0, v[24:25]
	v_mul_f64 v[30:31], v[56:57], s[20:21]
	v_fma_f64 v[24:25], s[12:13], v[74:75], v[0:1]
	v_mul_f64 v[32:33], v[54:55], s[20:21]
	v_fmac_f64_e32 v[30:31], s[10:11], v[40:41]
	v_fmac_f64_e32 v[24:25], s[14:15], v[44:45]
	v_fma_f64 v[26:27], s[12:13], v[76:77], v[2:3]
	v_fmac_f64_e32 v[32:33], s[10:11], v[12:13]
	v_fmac_f64_e32 v[30:31], s[4:5], v[52:53]
	;; [unrolled: 1-line block ×3, first 2 shown]
	v_fmac_f64_e32 v[24:25], -0.5, v[70:71]
	v_fmac_f64_e32 v[32:33], s[4:5], v[50:51]
	v_fmac_f64_e32 v[30:31], s[16:17], v[48:49]
	v_fmac_f64_e32 v[26:27], -0.5, v[72:73]
	v_fmac_f64_e32 v[24:25], s[18:19], v[66:67]
	v_fmac_f64_e32 v[32:33], s[16:17], v[42:43]
	;; [unrolled: 1-line block ×3, first 2 shown]
	v_add_f64 v[24:25], v[30:31], v[24:25]
	v_add_f64 v[26:27], v[26:27], -v[32:33]
	v_mov_b64_e32 v[28:29], v[24:25]
	v_fmac_f64_e32 v[28:29], -2.0, v[30:31]
	v_mov_b64_e32 v[30:31], v[26:27]
	v_add_f64 v[78:79], v[66:67], v[44:45]
	v_fmac_f64_e32 v[30:31], 2.0, v[32:33]
	v_add_f64 v[34:35], v[74:75], v[78:79]
	v_add_f64 v[32:33], v[0:1], v[70:71]
	;; [unrolled: 1-line block ×3, first 2 shown]
	v_fmac_f64_e32 v[32:33], -0.5, v[34:35]
	v_add_f64 v[34:35], v[2:3], v[72:73]
	v_add_f64 v[36:37], v[76:77], v[80:81]
	v_fmac_f64_e32 v[34:35], -0.5, v[36:37]
	v_add_f64 v[36:37], v[56:57], v[40:41]
	v_add_f64 v[36:37], v[36:37], -v[48:49]
	v_fmac_f64_e32 v[32:33], s[2:3], v[36:37]
	v_mul_f64 v[38:39], v[36:37], s[2:3]
	v_mov_b64_e32 v[36:37], v[32:33]
	v_fmac_f64_e32 v[36:37], -2.0, v[38:39]
	v_add_f64 v[38:39], v[54:55], v[12:13]
	v_mul_f64 v[54:55], v[54:55], s[10:11]
	v_add_f64 v[38:39], v[38:39], -v[42:43]
	v_fma_f64 v[54:55], v[42:43], s[20:21], -v[54:55]
	v_mul_f64 v[42:43], v[56:57], s[10:11]
	v_fma_f64 v[48:49], v[48:49], s[20:21], -v[42:43]
	v_fmac_f64_e32 v[54:55], s[2:3], v[50:51]
	v_fmac_f64_e32 v[48:49], s[2:3], v[52:53]
	;; [unrolled: 1-line block ×4, first 2 shown]
	v_add_f64 v[12:13], v[70:71], v[78:79]
	v_add_f64 v[40:41], v[72:73], v[80:81]
	;; [unrolled: 1-line block ×8, first 2 shown]
	v_fmac_f64_e32 v[0:1], s[12:13], v[66:67]
	v_fmac_f64_e32 v[2:3], s[12:13], v[68:69]
	;; [unrolled: 1-line block ×4, first 2 shown]
	v_fmac_f64_e32 v[0:1], -0.5, v[70:71]
	v_fmac_f64_e32 v[2:3], -0.5, v[72:73]
	v_fmac_f64_e32 v[34:35], s[4:5], v[38:39]
	v_fmac_f64_e32 v[0:1], s[18:19], v[44:45]
	;; [unrolled: 1-line block ×3, first 2 shown]
	v_mov_b32_e32 v12, 4
	v_mul_f64 v[82:83], v[38:39], s[2:3]
	v_mov_b64_e32 v[38:39], v[34:35]
	v_add_f64 v[0:1], v[48:49], v[0:1]
	v_add_f64 v[2:3], v[2:3], -v[54:55]
	v_lshlrev_b32_sdwa v12, v12, v15 dst_sel:DWORD dst_unused:UNUSED_PAD src0_sel:DWORD src1_sel:BYTE_0
	v_fmac_f64_e32 v[38:39], 2.0, v[82:83]
	v_mov_b64_e32 v[44:45], v[0:1]
	v_mov_b64_e32 v[46:47], v[2:3]
	v_add3_u32 v11, v11, v12, v14
	v_fmac_f64_e32 v[44:45], -2.0, v[48:49]
	v_fmac_f64_e32 v[46:47], 2.0, v[54:55]
	s_barrier
	ds_write_b128 v11, v[40:43]
	ds_write_b128 v11, v[16:19] offset:48
	ds_write_b128 v11, v[24:27] offset:96
	;; [unrolled: 1-line block ×8, first 2 shown]
	s_waitcnt lgkmcnt(0)
	s_barrier
	global_load_dwordx4 v[0:3], v[8:9], off offset:384
	global_load_dwordx4 v[12:15], v[8:9], off offset:400
	;; [unrolled: 1-line block ×8, first 2 shown]
	ds_read_b128 v[40:43], v10 offset:432
	ds_read_b128 v[44:47], v7
	ds_read_b128 v[48:51], v10 offset:864
	ds_read_b128 v[52:55], v10 offset:1296
	s_waitcnt vmcnt(7) lgkmcnt(3)
	v_mul_f64 v[8:9], v[42:43], v[2:3]
	s_waitcnt vmcnt(6) lgkmcnt(1)
	v_mul_f64 v[58:59], v[50:51], v[14:15]
	v_mul_f64 v[56:57], v[40:41], v[2:3]
	v_fma_f64 v[58:59], v[48:49], v[12:13], -v[58:59]
	v_mul_f64 v[48:49], v[48:49], v[14:15]
	v_fma_f64 v[8:9], v[40:41], v[0:1], -v[8:9]
	v_fmac_f64_e32 v[56:57], v[42:43], v[0:1]
	ds_read_b128 v[0:3], v10 offset:1728
	ds_read_b128 v[40:43], v10 offset:2160
	v_fmac_f64_e32 v[48:49], v[50:51], v[12:13]
	s_waitcnt vmcnt(5) lgkmcnt(2)
	v_mul_f64 v[12:13], v[54:55], v[18:19]
	v_fma_f64 v[50:51], v[52:53], v[16:17], -v[12:13]
	v_mul_f64 v[52:53], v[52:53], v[18:19]
	v_fmac_f64_e32 v[52:53], v[54:55], v[16:17]
	ds_read_b128 v[12:15], v10 offset:2592
	ds_read_b128 v[16:19], v10 offset:3024
	s_waitcnt vmcnt(4) lgkmcnt(3)
	v_mul_f64 v[54:55], v[2:3], v[22:23]
	v_mul_f64 v[60:61], v[0:1], v[22:23]
	v_fma_f64 v[54:55], v[0:1], v[20:21], -v[54:55]
	v_fmac_f64_e32 v[60:61], v[2:3], v[20:21]
	ds_read_b128 v[0:3], v10 offset:3456
	s_waitcnt vmcnt(3) lgkmcnt(3)
	v_mul_f64 v[20:21], v[42:43], v[26:27]
	v_fma_f64 v[62:63], v[40:41], v[24:25], -v[20:21]
	s_waitcnt vmcnt(2) lgkmcnt(2)
	v_mul_f64 v[20:21], v[14:15], v[30:31]
	v_fma_f64 v[20:21], v[12:13], v[28:29], -v[20:21]
	v_mul_f64 v[12:13], v[12:13], v[30:31]
	v_fmac_f64_e32 v[12:13], v[14:15], v[28:29]
	s_waitcnt vmcnt(1) lgkmcnt(1)
	v_mul_f64 v[14:15], v[18:19], v[34:35]
	v_fma_f64 v[14:15], v[16:17], v[32:33], -v[14:15]
	v_mul_f64 v[16:17], v[16:17], v[34:35]
	v_fmac_f64_e32 v[16:17], v[18:19], v[32:33]
	;; [unrolled: 5-line block ×3, first 2 shown]
	v_mul_f64 v[40:41], v[40:41], v[26:27]
	v_add_f64 v[36:37], v[8:9], v[18:19]
	v_add_f64 v[32:33], v[56:57], -v[0:1]
	v_fmac_f64_e32 v[40:41], v[42:43], v[24:25]
	v_add_f64 v[38:39], v[56:57], v[0:1]
	v_add_f64 v[42:43], v[58:59], v[14:15]
	;; [unrolled: 1-line block ×3, first 2 shown]
	v_add_f64 v[8:9], v[8:9], -v[18:19]
	v_add_f64 v[34:35], v[58:59], -v[14:15]
	;; [unrolled: 1-line block ×3, first 2 shown]
	v_mul_f64 v[14:15], v[32:33], s[22:23]
	v_fma_f64 v[0:1], s[12:13], v[36:37], v[44:45]
	v_add_f64 v[66:67], v[50:51], v[20:21]
	v_add_f64 v[68:69], v[52:53], v[12:13]
	v_add_f64 v[52:53], v[52:53], -v[12:13]
	v_mul_f64 v[16:17], v[8:9], s[22:23]
	v_fmac_f64_e32 v[14:15], s[10:11], v[48:49]
	v_fma_f64 v[2:3], s[12:13], v[38:39], v[46:47]
	v_fmac_f64_e32 v[0:1], s[14:15], v[42:43]
	v_add_f64 v[50:51], v[50:51], -v[20:21]
	v_fmac_f64_e32 v[16:17], s[10:11], v[34:35]
	v_fmac_f64_e32 v[14:15], s[2:3], v[52:53]
	v_add_f64 v[58:59], v[60:61], -v[40:41]
	v_fmac_f64_e32 v[2:3], s[14:15], v[64:65]
	v_fmac_f64_e32 v[0:1], -0.5, v[66:67]
	v_add_f64 v[70:71], v[54:55], v[62:63]
	v_fmac_f64_e32 v[16:17], s[2:3], v[50:51]
	v_add_f64 v[56:57], v[54:55], -v[62:63]
	v_fmac_f64_e32 v[14:15], s[16:17], v[58:59]
	v_fmac_f64_e32 v[2:3], -0.5, v[68:69]
	v_add_f64 v[72:73], v[60:61], v[40:41]
	v_fmac_f64_e32 v[0:1], s[18:19], v[70:71]
	v_fmac_f64_e32 v[16:17], s[16:17], v[56:57]
	;; [unrolled: 1-line block ×3, first 2 shown]
	v_add_f64 v[0:1], v[14:15], v[0:1]
	v_add_f64 v[2:3], v[2:3], -v[16:17]
	v_mov_b64_e32 v[12:13], v[0:1]
	v_fmac_f64_e32 v[12:13], -2.0, v[14:15]
	v_mov_b64_e32 v[14:15], v[2:3]
	v_fmac_f64_e32 v[14:15], 2.0, v[16:17]
	v_mul_f64 v[22:23], v[58:59], s[20:21]
	v_fma_f64 v[16:17], s[12:13], v[70:71], v[44:45]
	v_mul_f64 v[24:25], v[56:57], s[20:21]
	v_fmac_f64_e32 v[22:23], s[10:11], v[32:33]
	v_fmac_f64_e32 v[16:17], s[14:15], v[36:37]
	v_fma_f64 v[18:19], s[12:13], v[72:73], v[46:47]
	v_fmac_f64_e32 v[24:25], s[10:11], v[8:9]
	v_fmac_f64_e32 v[22:23], s[4:5], v[52:53]
	;; [unrolled: 1-line block ×3, first 2 shown]
	v_fmac_f64_e32 v[16:17], -0.5, v[66:67]
	v_fmac_f64_e32 v[24:25], s[4:5], v[50:51]
	v_fmac_f64_e32 v[22:23], s[16:17], v[48:49]
	v_fmac_f64_e32 v[18:19], -0.5, v[68:69]
	v_fmac_f64_e32 v[16:17], s[18:19], v[42:43]
	v_fmac_f64_e32 v[24:25], s[16:17], v[34:35]
	;; [unrolled: 1-line block ×3, first 2 shown]
	v_add_f64 v[16:17], v[22:23], v[16:17]
	v_add_f64 v[18:19], v[18:19], -v[24:25]
	v_mov_b64_e32 v[20:21], v[16:17]
	v_fmac_f64_e32 v[20:21], -2.0, v[22:23]
	v_mov_b64_e32 v[22:23], v[18:19]
	v_add_f64 v[74:75], v[42:43], v[36:37]
	v_fmac_f64_e32 v[22:23], 2.0, v[24:25]
	v_add_f64 v[26:27], v[70:71], v[74:75]
	v_add_f64 v[24:25], v[44:45], v[66:67]
	;; [unrolled: 1-line block ×3, first 2 shown]
	v_fmac_f64_e32 v[24:25], -0.5, v[26:27]
	v_add_f64 v[26:27], v[46:47], v[68:69]
	v_add_f64 v[28:29], v[72:73], v[76:77]
	v_fmac_f64_e32 v[26:27], -0.5, v[28:29]
	v_add_f64 v[28:29], v[58:59], v[32:33]
	v_add_f64 v[28:29], v[28:29], -v[48:49]
	v_fmac_f64_e32 v[24:25], s[2:3], v[28:29]
	v_mul_f64 v[30:31], v[28:29], s[2:3]
	v_mov_b64_e32 v[28:29], v[24:25]
	v_fmac_f64_e32 v[28:29], -2.0, v[30:31]
	v_add_f64 v[30:31], v[56:57], v[8:9]
	v_mul_f64 v[56:57], v[56:57], s[10:11]
	v_add_f64 v[30:31], v[30:31], -v[34:35]
	v_fma_f64 v[56:57], v[34:35], s[20:21], -v[56:57]
	v_mul_f64 v[34:35], v[58:59], s[10:11]
	v_fma_f64 v[48:49], v[48:49], s[20:21], -v[34:35]
	v_fmac_f64_e32 v[56:57], s[2:3], v[50:51]
	v_fmac_f64_e32 v[48:49], s[2:3], v[52:53]
	;; [unrolled: 1-line block ×4, first 2 shown]
	v_add_f64 v[8:9], v[66:67], v[74:75]
	v_add_f64 v[32:33], v[68:69], v[76:77]
	;; [unrolled: 1-line block ×8, first 2 shown]
	v_fmac_f64_e32 v[44:45], s[12:13], v[42:43]
	v_fmac_f64_e32 v[46:47], s[12:13], v[64:65]
	;; [unrolled: 1-line block ×4, first 2 shown]
	v_fmac_f64_e32 v[44:45], -0.5, v[66:67]
	v_fmac_f64_e32 v[46:47], -0.5, v[68:69]
	v_fmac_f64_e32 v[44:45], s[18:19], v[36:37]
	v_fmac_f64_e32 v[46:47], s[18:19], v[38:39]
	;; [unrolled: 1-line block ×3, first 2 shown]
	v_add_f64 v[36:37], v[48:49], v[44:45]
	v_add_f64 v[38:39], v[46:47], -v[56:57]
	v_mul_f64 v[78:79], v[30:31], s[2:3]
	v_mov_b64_e32 v[30:31], v[26:27]
	v_mov_b64_e32 v[40:41], v[36:37]
	v_mov_b64_e32 v[42:43], v[38:39]
	v_fmac_f64_e32 v[30:31], 2.0, v[78:79]
	v_fmac_f64_e32 v[40:41], -2.0, v[48:49]
	v_fmac_f64_e32 v[42:43], 2.0, v[56:57]
	s_barrier
	ds_write_b128 v10, v[32:35]
	ds_write_b128 v10, v[0:3] offset:432
	ds_write_b128 v10, v[16:19] offset:864
	;; [unrolled: 1-line block ×8, first 2 shown]
	s_waitcnt lgkmcnt(0)
	s_barrier
	s_and_saveexec_b64 s[2:3], vcc
	s_cbranch_execz .LBB0_12
; %bb.11:
	s_load_dwordx2 s[0:1], s[0:1], 0x58
	v_mad_u64_u32 v[8:9], s[2:3], s6, v4, 0
	v_mov_b32_e32 v0, v9
	v_mad_u64_u32 v[0:1], s[2:3], s7, v4, v[0:1]
	v_lshl_add_u32 v14, v6, 4, v5
	v_mov_b32_e32 v9, v0
	ds_read_b128 v[0:3], v14
	s_waitcnt lgkmcnt(0)
	v_lshl_add_u64 v[4:5], v[8:9], 4, s[0:1]
	ds_read_b128 v[8:11], v14 offset:432
	v_mov_b32_e32 v7, 0
	v_lshl_add_u64 v[12:13], v[6:7], 4, v[4:5]
	global_store_dwordx4 v[12:13], v[0:3], off
	s_nop 1
	v_add_u32_e32 v0, 27, v6
	v_mov_b32_e32 v1, v7
	v_lshl_add_u64 v[0:1], v[0:1], 4, v[4:5]
	s_waitcnt lgkmcnt(0)
	global_store_dwordx4 v[0:1], v[8:11], off
	ds_read_b128 v[0:3], v14 offset:864
	s_nop 0
	v_add_u32_e32 v8, 54, v6
	v_mov_b32_e32 v9, v7
	v_lshl_add_u64 v[12:13], v[8:9], 4, v[4:5]
	ds_read_b128 v[8:11], v14 offset:1296
	s_waitcnt lgkmcnt(1)
	global_store_dwordx4 v[12:13], v[0:3], off
	s_nop 1
	v_add_u32_e32 v0, 0x51, v6
	v_mov_b32_e32 v1, v7
	v_lshl_add_u64 v[0:1], v[0:1], 4, v[4:5]
	s_waitcnt lgkmcnt(0)
	global_store_dwordx4 v[0:1], v[8:11], off
	ds_read_b128 v[0:3], v14 offset:1728
	s_nop 0
	v_add_u32_e32 v8, 0x6c, v6
	v_mov_b32_e32 v9, v7
	v_lshl_add_u64 v[12:13], v[8:9], 4, v[4:5]
	ds_read_b128 v[8:11], v14 offset:2160
	s_waitcnt lgkmcnt(1)
	;; [unrolled: 14-line block ×3, first 2 shown]
	global_store_dwordx4 v[12:13], v[0:3], off
	ds_read_b128 v[0:3], v14 offset:3456
	v_add_u32_e32 v12, 0xbd, v6
	v_mov_b32_e32 v13, v7
	v_add_u32_e32 v6, 0xd8, v6
	v_lshl_add_u64 v[12:13], v[12:13], 4, v[4:5]
	v_lshl_add_u64 v[4:5], v[6:7], 4, v[4:5]
	s_waitcnt lgkmcnt(1)
	global_store_dwordx4 v[12:13], v[8:11], off
	s_waitcnt lgkmcnt(0)
	global_store_dwordx4 v[4:5], v[0:3], off
.LBB0_12:
	s_endpgm
	.section	.rodata,"a",@progbits
	.p2align	6, 0x0
	.amdhsa_kernel fft_rtc_fwd_len243_factors_3_9_9_wgs_108_tpt_27_halfLds_dim1_dp_op_CI_CI_unitstride_sbrr_C2R_dirReg
		.amdhsa_group_segment_fixed_size 0
		.amdhsa_private_segment_fixed_size 0
		.amdhsa_kernarg_size 96
		.amdhsa_user_sgpr_count 2
		.amdhsa_user_sgpr_dispatch_ptr 0
		.amdhsa_user_sgpr_queue_ptr 0
		.amdhsa_user_sgpr_kernarg_segment_ptr 1
		.amdhsa_user_sgpr_dispatch_id 0
		.amdhsa_user_sgpr_kernarg_preload_length 0
		.amdhsa_user_sgpr_kernarg_preload_offset 0
		.amdhsa_user_sgpr_private_segment_size 0
		.amdhsa_uses_dynamic_stack 0
		.amdhsa_enable_private_segment 0
		.amdhsa_system_sgpr_workgroup_id_x 1
		.amdhsa_system_sgpr_workgroup_id_y 0
		.amdhsa_system_sgpr_workgroup_id_z 0
		.amdhsa_system_sgpr_workgroup_info 0
		.amdhsa_system_vgpr_workitem_id 0
		.amdhsa_next_free_vgpr 84
		.amdhsa_next_free_sgpr 25
		.amdhsa_accum_offset 84
		.amdhsa_reserve_vcc 1
		.amdhsa_float_round_mode_32 0
		.amdhsa_float_round_mode_16_64 0
		.amdhsa_float_denorm_mode_32 3
		.amdhsa_float_denorm_mode_16_64 3
		.amdhsa_dx10_clamp 1
		.amdhsa_ieee_mode 1
		.amdhsa_fp16_overflow 0
		.amdhsa_tg_split 0
		.amdhsa_exception_fp_ieee_invalid_op 0
		.amdhsa_exception_fp_denorm_src 0
		.amdhsa_exception_fp_ieee_div_zero 0
		.amdhsa_exception_fp_ieee_overflow 0
		.amdhsa_exception_fp_ieee_underflow 0
		.amdhsa_exception_fp_ieee_inexact 0
		.amdhsa_exception_int_div_zero 0
	.end_amdhsa_kernel
	.text
.Lfunc_end0:
	.size	fft_rtc_fwd_len243_factors_3_9_9_wgs_108_tpt_27_halfLds_dim1_dp_op_CI_CI_unitstride_sbrr_C2R_dirReg, .Lfunc_end0-fft_rtc_fwd_len243_factors_3_9_9_wgs_108_tpt_27_halfLds_dim1_dp_op_CI_CI_unitstride_sbrr_C2R_dirReg
                                        ; -- End function
	.section	.AMDGPU.csdata,"",@progbits
; Kernel info:
; codeLenInByte = 4692
; NumSgprs: 31
; NumVgprs: 84
; NumAgprs: 0
; TotalNumVgprs: 84
; ScratchSize: 0
; MemoryBound: 0
; FloatMode: 240
; IeeeMode: 1
; LDSByteSize: 0 bytes/workgroup (compile time only)
; SGPRBlocks: 3
; VGPRBlocks: 10
; NumSGPRsForWavesPerEU: 31
; NumVGPRsForWavesPerEU: 84
; AccumOffset: 84
; Occupancy: 5
; WaveLimiterHint : 1
; COMPUTE_PGM_RSRC2:SCRATCH_EN: 0
; COMPUTE_PGM_RSRC2:USER_SGPR: 2
; COMPUTE_PGM_RSRC2:TRAP_HANDLER: 0
; COMPUTE_PGM_RSRC2:TGID_X_EN: 1
; COMPUTE_PGM_RSRC2:TGID_Y_EN: 0
; COMPUTE_PGM_RSRC2:TGID_Z_EN: 0
; COMPUTE_PGM_RSRC2:TIDIG_COMP_CNT: 0
; COMPUTE_PGM_RSRC3_GFX90A:ACCUM_OFFSET: 20
; COMPUTE_PGM_RSRC3_GFX90A:TG_SPLIT: 0
	.text
	.p2alignl 6, 3212836864
	.fill 256, 4, 3212836864
	.type	__hip_cuid_5eb95abae7fb996d,@object ; @__hip_cuid_5eb95abae7fb996d
	.section	.bss,"aw",@nobits
	.globl	__hip_cuid_5eb95abae7fb996d
__hip_cuid_5eb95abae7fb996d:
	.byte	0                               ; 0x0
	.size	__hip_cuid_5eb95abae7fb996d, 1

	.ident	"AMD clang version 19.0.0git (https://github.com/RadeonOpenCompute/llvm-project roc-6.4.0 25133 c7fe45cf4b819c5991fe208aaa96edf142730f1d)"
	.section	".note.GNU-stack","",@progbits
	.addrsig
	.addrsig_sym __hip_cuid_5eb95abae7fb996d
	.amdgpu_metadata
---
amdhsa.kernels:
  - .agpr_count:     0
    .args:
      - .actual_access:  read_only
        .address_space:  global
        .offset:         0
        .size:           8
        .value_kind:     global_buffer
      - .actual_access:  read_only
        .address_space:  global
        .offset:         8
        .size:           8
        .value_kind:     global_buffer
      - .actual_access:  read_only
        .address_space:  global
        .offset:         16
        .size:           8
        .value_kind:     global_buffer
      - .actual_access:  read_only
        .address_space:  global
        .offset:         24
        .size:           8
        .value_kind:     global_buffer
      - .offset:         32
        .size:           8
        .value_kind:     by_value
      - .actual_access:  read_only
        .address_space:  global
        .offset:         40
        .size:           8
        .value_kind:     global_buffer
      - .actual_access:  read_only
        .address_space:  global
        .offset:         48
        .size:           8
        .value_kind:     global_buffer
      - .offset:         56
        .size:           4
        .value_kind:     by_value
      - .actual_access:  read_only
        .address_space:  global
        .offset:         64
        .size:           8
        .value_kind:     global_buffer
      - .actual_access:  read_only
        .address_space:  global
        .offset:         72
        .size:           8
        .value_kind:     global_buffer
      - .actual_access:  read_only
        .address_space:  global
        .offset:         80
        .size:           8
        .value_kind:     global_buffer
      - .actual_access:  write_only
        .address_space:  global
        .offset:         88
        .size:           8
        .value_kind:     global_buffer
    .group_segment_fixed_size: 0
    .kernarg_segment_align: 8
    .kernarg_segment_size: 96
    .language:       OpenCL C
    .language_version:
      - 2
      - 0
    .max_flat_workgroup_size: 108
    .name:           fft_rtc_fwd_len243_factors_3_9_9_wgs_108_tpt_27_halfLds_dim1_dp_op_CI_CI_unitstride_sbrr_C2R_dirReg
    .private_segment_fixed_size: 0
    .sgpr_count:     31
    .sgpr_spill_count: 0
    .symbol:         fft_rtc_fwd_len243_factors_3_9_9_wgs_108_tpt_27_halfLds_dim1_dp_op_CI_CI_unitstride_sbrr_C2R_dirReg.kd
    .uniform_work_group_size: 1
    .uses_dynamic_stack: false
    .vgpr_count:     84
    .vgpr_spill_count: 0
    .wavefront_size: 64
amdhsa.target:   amdgcn-amd-amdhsa--gfx950
amdhsa.version:
  - 1
  - 2
...

	.end_amdgpu_metadata
